;; amdgpu-corpus repo=zjin-lcf/HeCBench kind=compiled arch=gfx1250 opt=O3
	.amdgcn_target "amdgcn-amd-amdhsa--gfx1250"
	.amdhsa_code_object_version 6
	.text
	.protected	_Z4copyPfPKfii          ; -- Begin function _Z4copyPfPKfii
	.globl	_Z4copyPfPKfii
	.p2align	8
	.type	_Z4copyPfPKfii,@function
_Z4copyPfPKfii:                         ; @_Z4copyPfPKfii
; %bb.0:
	s_load_b32 s4, s[0:1], 0x10
	s_bfe_u32 s2, ttmp6, 0x4000c
	s_bfe_u32 s5, ttmp6, 0x40010
	s_add_co_i32 s2, s2, 1
	s_and_b32 s3, ttmp6, 15
	s_mul_i32 s2, ttmp9, s2
	s_add_co_i32 s5, s5, 1
	s_add_co_i32 s6, s3, s2
	s_mul_i32 s2, ttmp7, s5
	s_bfe_u32 s3, ttmp6, 0x40004
	s_getreg_b32 s5, hwreg(HW_REG_IB_STS2, 6, 4)
	s_add_co_i32 s7, s3, s2
	v_and_b32_e32 v1, 0x3ff, v0
	v_bfe_u32 v0, v0, 10, 10
	s_cmp_eq_u32 s5, 0
	s_wait_xcnt 0x0
	s_load_b128 s[0:3], s[0:1], 0x0
	s_cselect_b32 s5, ttmp9, s6
	s_cselect_b32 s6, ttmp7, s7
	v_lshl_add_u32 v1, s5, 4, v1
	v_lshl_add_u32 v0, s6, 4, v0
	s_wait_kmcnt 0x0
	s_delay_alu instid0(VALU_DEP_1)
	v_mad_u32 v0, s4, v0, v1
	global_load_b32 v1, v0, s[2:3] scale_offset
	s_wait_loadcnt 0x0
	global_store_b32 v0, v1, s[0:1] scale_offset
	s_endpgm
	.section	.rodata,"a",@progbits
	.p2align	6, 0x0
	.amdhsa_kernel _Z4copyPfPKfii
		.amdhsa_group_segment_fixed_size 0
		.amdhsa_private_segment_fixed_size 0
		.amdhsa_kernarg_size 24
		.amdhsa_user_sgpr_count 2
		.amdhsa_user_sgpr_dispatch_ptr 0
		.amdhsa_user_sgpr_queue_ptr 0
		.amdhsa_user_sgpr_kernarg_segment_ptr 1
		.amdhsa_user_sgpr_dispatch_id 0
		.amdhsa_user_sgpr_kernarg_preload_length 0
		.amdhsa_user_sgpr_kernarg_preload_offset 0
		.amdhsa_user_sgpr_private_segment_size 0
		.amdhsa_wavefront_size32 1
		.amdhsa_uses_dynamic_stack 0
		.amdhsa_enable_private_segment 0
		.amdhsa_system_sgpr_workgroup_id_x 1
		.amdhsa_system_sgpr_workgroup_id_y 1
		.amdhsa_system_sgpr_workgroup_id_z 0
		.amdhsa_system_sgpr_workgroup_info 0
		.amdhsa_system_vgpr_workitem_id 1
		.amdhsa_next_free_vgpr 2
		.amdhsa_next_free_sgpr 8
		.amdhsa_named_barrier_count 0
		.amdhsa_reserve_vcc 0
		.amdhsa_float_round_mode_32 0
		.amdhsa_float_round_mode_16_64 0
		.amdhsa_float_denorm_mode_32 3
		.amdhsa_float_denorm_mode_16_64 3
		.amdhsa_fp16_overflow 0
		.amdhsa_memory_ordered 1
		.amdhsa_forward_progress 1
		.amdhsa_inst_pref_size 2
		.amdhsa_round_robin_scheduling 0
		.amdhsa_exception_fp_ieee_invalid_op 0
		.amdhsa_exception_fp_denorm_src 0
		.amdhsa_exception_fp_ieee_div_zero 0
		.amdhsa_exception_fp_ieee_overflow 0
		.amdhsa_exception_fp_ieee_underflow 0
		.amdhsa_exception_fp_ieee_inexact 0
		.amdhsa_exception_int_div_zero 0
	.end_amdhsa_kernel
	.text
.Lfunc_end0:
	.size	_Z4copyPfPKfii, .Lfunc_end0-_Z4copyPfPKfii
                                        ; -- End function
	.set _Z4copyPfPKfii.num_vgpr, 2
	.set _Z4copyPfPKfii.num_agpr, 0
	.set _Z4copyPfPKfii.numbered_sgpr, 8
	.set _Z4copyPfPKfii.num_named_barrier, 0
	.set _Z4copyPfPKfii.private_seg_size, 0
	.set _Z4copyPfPKfii.uses_vcc, 0
	.set _Z4copyPfPKfii.uses_flat_scratch, 0
	.set _Z4copyPfPKfii.has_dyn_sized_stack, 0
	.set _Z4copyPfPKfii.has_recursion, 0
	.set _Z4copyPfPKfii.has_indirect_call, 0
	.section	.AMDGPU.csdata,"",@progbits
; Kernel info:
; codeLenInByte = 168
; TotalNumSgprs: 8
; NumVgprs: 2
; ScratchSize: 0
; MemoryBound: 0
; FloatMode: 240
; IeeeMode: 1
; LDSByteSize: 0 bytes/workgroup (compile time only)
; SGPRBlocks: 0
; VGPRBlocks: 0
; NumSGPRsForWavesPerEU: 8
; NumVGPRsForWavesPerEU: 2
; NamedBarCnt: 0
; Occupancy: 16
; WaveLimiterHint : 0
; COMPUTE_PGM_RSRC2:SCRATCH_EN: 0
; COMPUTE_PGM_RSRC2:USER_SGPR: 2
; COMPUTE_PGM_RSRC2:TRAP_HANDLER: 0
; COMPUTE_PGM_RSRC2:TGID_X_EN: 1
; COMPUTE_PGM_RSRC2:TGID_Y_EN: 1
; COMPUTE_PGM_RSRC2:TGID_Z_EN: 0
; COMPUTE_PGM_RSRC2:TIDIG_COMP_CNT: 1
	.text
	.protected	_Z13copySharedMemPfPKfii ; -- Begin function _Z13copySharedMemPfPKfii
	.globl	_Z13copySharedMemPfPKfii
	.p2align	8
	.type	_Z13copySharedMemPfPKfii,@function
_Z13copySharedMemPfPKfii:               ; @_Z13copySharedMemPfPKfii
; %bb.0:
	s_load_b64 s[4:5], s[0:1], 0x10
	s_bfe_u32 s3, ttmp6, 0x4000c
	s_bfe_u32 s6, ttmp6, 0x40010
	s_add_co_i32 s3, s3, 1
	s_and_b32 s2, ttmp6, 15
	s_mul_i32 s3, ttmp9, s3
	s_add_co_i32 s6, s6, 1
	s_add_co_i32 s2, s2, s3
	s_mul_i32 s3, ttmp7, s6
	s_bfe_u32 s6, ttmp6, 0x40004
	s_getreg_b32 s7, hwreg(HW_REG_IB_STS2, 6, 4)
	v_and_b32_e32 v2, 0x3ff, v0
	s_add_co_i32 s6, s6, s3
	v_bfe_u32 v0, v0, 10, 10
	s_cmp_eq_u32 s7, 0
	s_cselect_b32 s2, ttmp9, s2
	s_cselect_b32 s3, ttmp7, s6
	v_lshl_add_u32 v3, s2, 4, v2
	v_lshl_add_u32 v4, s3, 4, v0
	v_lshlrev_b32_e32 v2, 2, v2
	s_wait_kmcnt 0x0
	s_delay_alu instid0(VALU_DEP_3) | instskip(NEXT) | instid1(VALU_DEP_3)
	v_cmp_gt_i32_e32 vcc_lo, s4, v3
	v_mad_u32 v1, s4, v4, v3
	v_cmp_gt_i32_e64 s2, s5, v4
	s_and_b32 s3, vcc_lo, s2
	s_delay_alu instid0(SALU_CYCLE_1)
	s_and_saveexec_b32 s2, s3
	s_cbranch_execz .LBB1_2
; %bb.1:
	s_load_b64 s[6:7], s[0:1], 0x8
	v_lshl_add_u32 v6, v0, 6, v2
	s_wait_kmcnt 0x0
	global_load_b32 v5, v1, s[6:7] scale_offset
	s_wait_loadcnt 0x0
	ds_store_b32 v6, v5
.LBB1_2:
	s_or_b32 exec_lo, exec_lo, s2
	v_cmp_gt_i32_e32 vcc_lo, s5, v3
	v_cmp_gt_i32_e64 s2, s4, v4
	s_wait_dscnt 0x0
	s_barrier_signal -1
	s_barrier_wait -1
	s_and_b32 s2, s2, vcc_lo
	s_delay_alu instid0(SALU_CYCLE_1)
	s_and_saveexec_b32 s3, s2
	s_cbranch_execz .LBB1_4
; %bb.3:
	v_lshl_add_u32 v0, v0, 6, v2
	s_load_b64 s[0:1], s[0:1], 0x0
	ds_load_b32 v0, v0
	s_wait_dscnt 0x0
	s_wait_kmcnt 0x0
	global_store_b32 v1, v0, s[0:1] scale_offset
.LBB1_4:
	s_endpgm
	.section	.rodata,"a",@progbits
	.p2align	6, 0x0
	.amdhsa_kernel _Z13copySharedMemPfPKfii
		.amdhsa_group_segment_fixed_size 1024
		.amdhsa_private_segment_fixed_size 0
		.amdhsa_kernarg_size 24
		.amdhsa_user_sgpr_count 2
		.amdhsa_user_sgpr_dispatch_ptr 0
		.amdhsa_user_sgpr_queue_ptr 0
		.amdhsa_user_sgpr_kernarg_segment_ptr 1
		.amdhsa_user_sgpr_dispatch_id 0
		.amdhsa_user_sgpr_kernarg_preload_length 0
		.amdhsa_user_sgpr_kernarg_preload_offset 0
		.amdhsa_user_sgpr_private_segment_size 0
		.amdhsa_wavefront_size32 1
		.amdhsa_uses_dynamic_stack 0
		.amdhsa_enable_private_segment 0
		.amdhsa_system_sgpr_workgroup_id_x 1
		.amdhsa_system_sgpr_workgroup_id_y 1
		.amdhsa_system_sgpr_workgroup_id_z 0
		.amdhsa_system_sgpr_workgroup_info 0
		.amdhsa_system_vgpr_workitem_id 1
		.amdhsa_next_free_vgpr 7
		.amdhsa_next_free_sgpr 8
		.amdhsa_named_barrier_count 0
		.amdhsa_reserve_vcc 1
		.amdhsa_float_round_mode_32 0
		.amdhsa_float_round_mode_16_64 0
		.amdhsa_float_denorm_mode_32 3
		.amdhsa_float_denorm_mode_16_64 3
		.amdhsa_fp16_overflow 0
		.amdhsa_memory_ordered 1
		.amdhsa_forward_progress 1
		.amdhsa_inst_pref_size 3
		.amdhsa_round_robin_scheduling 0
		.amdhsa_exception_fp_ieee_invalid_op 0
		.amdhsa_exception_fp_denorm_src 0
		.amdhsa_exception_fp_ieee_div_zero 0
		.amdhsa_exception_fp_ieee_overflow 0
		.amdhsa_exception_fp_ieee_underflow 0
		.amdhsa_exception_fp_ieee_inexact 0
		.amdhsa_exception_int_div_zero 0
	.end_amdhsa_kernel
	.text
.Lfunc_end1:
	.size	_Z13copySharedMemPfPKfii, .Lfunc_end1-_Z13copySharedMemPfPKfii
                                        ; -- End function
	.set _Z13copySharedMemPfPKfii.num_vgpr, 7
	.set _Z13copySharedMemPfPKfii.num_agpr, 0
	.set _Z13copySharedMemPfPKfii.numbered_sgpr, 8
	.set _Z13copySharedMemPfPKfii.num_named_barrier, 0
	.set _Z13copySharedMemPfPKfii.private_seg_size, 0
	.set _Z13copySharedMemPfPKfii.uses_vcc, 1
	.set _Z13copySharedMemPfPKfii.uses_flat_scratch, 0
	.set _Z13copySharedMemPfPKfii.has_dyn_sized_stack, 0
	.set _Z13copySharedMemPfPKfii.has_recursion, 0
	.set _Z13copySharedMemPfPKfii.has_indirect_call, 0
	.section	.AMDGPU.csdata,"",@progbits
; Kernel info:
; codeLenInByte = 292
; TotalNumSgprs: 10
; NumVgprs: 7
; ScratchSize: 0
; MemoryBound: 0
; FloatMode: 240
; IeeeMode: 1
; LDSByteSize: 1024 bytes/workgroup (compile time only)
; SGPRBlocks: 0
; VGPRBlocks: 0
; NumSGPRsForWavesPerEU: 10
; NumVGPRsForWavesPerEU: 7
; NamedBarCnt: 0
; Occupancy: 16
; WaveLimiterHint : 0
; COMPUTE_PGM_RSRC2:SCRATCH_EN: 0
; COMPUTE_PGM_RSRC2:USER_SGPR: 2
; COMPUTE_PGM_RSRC2:TRAP_HANDLER: 0
; COMPUTE_PGM_RSRC2:TGID_X_EN: 1
; COMPUTE_PGM_RSRC2:TGID_Y_EN: 1
; COMPUTE_PGM_RSRC2:TGID_Z_EN: 0
; COMPUTE_PGM_RSRC2:TIDIG_COMP_CNT: 1
	.text
	.protected	_Z14transposeNaivePfPKfii ; -- Begin function _Z14transposeNaivePfPKfii
	.globl	_Z14transposeNaivePfPKfii
	.p2align	8
	.type	_Z14transposeNaivePfPKfii,@function
_Z14transposeNaivePfPKfii:              ; @_Z14transposeNaivePfPKfii
; %bb.0:
	s_load_b64 s[4:5], s[0:1], 0x10
	s_bfe_u32 s2, ttmp6, 0x4000c
	s_bfe_u32 s6, ttmp6, 0x40010
	s_add_co_i32 s2, s2, 1
	s_and_b32 s3, ttmp6, 15
	s_mul_i32 s2, ttmp9, s2
	s_add_co_i32 s6, s6, 1
	s_add_co_i32 s7, s3, s2
	s_mul_i32 s2, ttmp7, s6
	s_bfe_u32 s3, ttmp6, 0x40004
	s_getreg_b32 s6, hwreg(HW_REG_IB_STS2, 6, 4)
	s_add_co_i32 s8, s3, s2
	v_and_b32_e32 v1, 0x3ff, v0
	v_bfe_u32 v0, v0, 10, 10
	s_cmp_eq_u32 s6, 0
	s_wait_xcnt 0x0
	s_load_b128 s[0:3], s[0:1], 0x0
	s_cselect_b32 s6, ttmp9, s7
	s_cselect_b32 s7, ttmp7, s8
	v_lshl_add_u32 v1, s6, 4, v1
	v_lshl_add_u32 v0, s7, 4, v0
	s_wait_kmcnt 0x0
	s_delay_alu instid0(VALU_DEP_1)
	v_mad_u32 v2, s4, v0, v1
	v_mad_u32 v0, s5, v1, v0
	global_load_b32 v2, v2, s[2:3] scale_offset
	s_wait_loadcnt 0x0
	global_store_b32 v0, v2, s[0:1] scale_offset
	s_endpgm
	.section	.rodata,"a",@progbits
	.p2align	6, 0x0
	.amdhsa_kernel _Z14transposeNaivePfPKfii
		.amdhsa_group_segment_fixed_size 0
		.amdhsa_private_segment_fixed_size 0
		.amdhsa_kernarg_size 24
		.amdhsa_user_sgpr_count 2
		.amdhsa_user_sgpr_dispatch_ptr 0
		.amdhsa_user_sgpr_queue_ptr 0
		.amdhsa_user_sgpr_kernarg_segment_ptr 1
		.amdhsa_user_sgpr_dispatch_id 0
		.amdhsa_user_sgpr_kernarg_preload_length 0
		.amdhsa_user_sgpr_kernarg_preload_offset 0
		.amdhsa_user_sgpr_private_segment_size 0
		.amdhsa_wavefront_size32 1
		.amdhsa_uses_dynamic_stack 0
		.amdhsa_enable_private_segment 0
		.amdhsa_system_sgpr_workgroup_id_x 1
		.amdhsa_system_sgpr_workgroup_id_y 1
		.amdhsa_system_sgpr_workgroup_id_z 0
		.amdhsa_system_sgpr_workgroup_info 0
		.amdhsa_system_vgpr_workitem_id 1
		.amdhsa_next_free_vgpr 3
		.amdhsa_next_free_sgpr 9
		.amdhsa_named_barrier_count 0
		.amdhsa_reserve_vcc 0
		.amdhsa_float_round_mode_32 0
		.amdhsa_float_round_mode_16_64 0
		.amdhsa_float_denorm_mode_32 3
		.amdhsa_float_denorm_mode_16_64 3
		.amdhsa_fp16_overflow 0
		.amdhsa_memory_ordered 1
		.amdhsa_forward_progress 1
		.amdhsa_inst_pref_size 2
		.amdhsa_round_robin_scheduling 0
		.amdhsa_exception_fp_ieee_invalid_op 0
		.amdhsa_exception_fp_denorm_src 0
		.amdhsa_exception_fp_ieee_div_zero 0
		.amdhsa_exception_fp_ieee_overflow 0
		.amdhsa_exception_fp_ieee_underflow 0
		.amdhsa_exception_fp_ieee_inexact 0
		.amdhsa_exception_int_div_zero 0
	.end_amdhsa_kernel
	.text
.Lfunc_end2:
	.size	_Z14transposeNaivePfPKfii, .Lfunc_end2-_Z14transposeNaivePfPKfii
                                        ; -- End function
	.set _Z14transposeNaivePfPKfii.num_vgpr, 3
	.set _Z14transposeNaivePfPKfii.num_agpr, 0
	.set _Z14transposeNaivePfPKfii.numbered_sgpr, 9
	.set _Z14transposeNaivePfPKfii.num_named_barrier, 0
	.set _Z14transposeNaivePfPKfii.private_seg_size, 0
	.set _Z14transposeNaivePfPKfii.uses_vcc, 0
	.set _Z14transposeNaivePfPKfii.uses_flat_scratch, 0
	.set _Z14transposeNaivePfPKfii.has_dyn_sized_stack, 0
	.set _Z14transposeNaivePfPKfii.has_recursion, 0
	.set _Z14transposeNaivePfPKfii.has_indirect_call, 0
	.section	.AMDGPU.csdata,"",@progbits
; Kernel info:
; codeLenInByte = 176
; TotalNumSgprs: 9
; NumVgprs: 3
; ScratchSize: 0
; MemoryBound: 0
; FloatMode: 240
; IeeeMode: 1
; LDSByteSize: 0 bytes/workgroup (compile time only)
; SGPRBlocks: 0
; VGPRBlocks: 0
; NumSGPRsForWavesPerEU: 9
; NumVGPRsForWavesPerEU: 3
; NamedBarCnt: 0
; Occupancy: 16
; WaveLimiterHint : 0
; COMPUTE_PGM_RSRC2:SCRATCH_EN: 0
; COMPUTE_PGM_RSRC2:USER_SGPR: 2
; COMPUTE_PGM_RSRC2:TRAP_HANDLER: 0
; COMPUTE_PGM_RSRC2:TGID_X_EN: 1
; COMPUTE_PGM_RSRC2:TGID_Y_EN: 1
; COMPUTE_PGM_RSRC2:TGID_Z_EN: 0
; COMPUTE_PGM_RSRC2:TIDIG_COMP_CNT: 1
	.text
	.protected	_Z18transposeCoalescedPfPKfii ; -- Begin function _Z18transposeCoalescedPfPKfii
	.globl	_Z18transposeCoalescedPfPKfii
	.p2align	8
	.type	_Z18transposeCoalescedPfPKfii,@function
_Z18transposeCoalescedPfPKfii:          ; @_Z18transposeCoalescedPfPKfii
; %bb.0:
	s_load_b64 s[4:5], s[0:1], 0x10
	s_bfe_u32 s2, ttmp6, 0x4000c
	s_bfe_u32 s6, ttmp6, 0x40010
	s_add_co_i32 s2, s2, 1
	s_and_b32 s3, ttmp6, 15
	s_mul_i32 s2, ttmp9, s2
	s_add_co_i32 s6, s6, 1
	s_add_co_i32 s7, s3, s2
	s_mul_i32 s2, ttmp7, s6
	s_bfe_u32 s3, ttmp6, 0x40004
	s_getreg_b32 s6, hwreg(HW_REG_IB_STS2, 6, 4)
	s_add_co_i32 s8, s3, s2
	s_cmp_eq_u32 s6, 0
	v_and_b32_e32 v1, 0x3ff, v0
	v_bfe_u32 v0, v0, 10, 10
	s_wait_xcnt 0x0
	s_load_b128 s[0:3], s[0:1], 0x0
	s_cselect_b32 s6, ttmp9, s7
	s_cselect_b32 s7, ttmp7, s8
	s_lshl_b32 s6, s6, 4
	s_lshl_b32 s7, s7, 4
	s_delay_alu instid0(SALU_CYCLE_1) | instskip(SKIP_2) | instid1(VALU_DEP_2)
	v_dual_add_nc_u32 v2, s6, v1 :: v_dual_add_nc_u32 v3, s7, v0
	v_lshlrev_b32_e32 v4, 2, v0
	s_wait_kmcnt 0x0
	v_mad_u32 v2, s4, v3, v2
	v_lshlrev_b32_e32 v3, 2, v1
	s_delay_alu instid0(VALU_DEP_3) | instskip(SKIP_1) | instid1(VALU_DEP_3)
	v_lshl_add_u32 v4, v1, 6, v4
	v_add_nc_u32_e32 v1, s7, v1
	v_lshl_add_u32 v3, v0, 6, v3
	v_add_nc_u32_e32 v0, s6, v0
	global_load_b32 v2, v2, s[2:3] scale_offset
	v_mad_u32 v0, s5, v0, v1
	s_wait_loadcnt 0x0
	ds_store_b32 v3, v2
	s_wait_dscnt 0x0
	s_barrier_signal -1
	s_barrier_wait -1
	ds_load_b32 v2, v4
	s_wait_dscnt 0x0
	global_store_b32 v0, v2, s[0:1] scale_offset
	s_endpgm
	.section	.rodata,"a",@progbits
	.p2align	6, 0x0
	.amdhsa_kernel _Z18transposeCoalescedPfPKfii
		.amdhsa_group_segment_fixed_size 1024
		.amdhsa_private_segment_fixed_size 0
		.amdhsa_kernarg_size 24
		.amdhsa_user_sgpr_count 2
		.amdhsa_user_sgpr_dispatch_ptr 0
		.amdhsa_user_sgpr_queue_ptr 0
		.amdhsa_user_sgpr_kernarg_segment_ptr 1
		.amdhsa_user_sgpr_dispatch_id 0
		.amdhsa_user_sgpr_kernarg_preload_length 0
		.amdhsa_user_sgpr_kernarg_preload_offset 0
		.amdhsa_user_sgpr_private_segment_size 0
		.amdhsa_wavefront_size32 1
		.amdhsa_uses_dynamic_stack 0
		.amdhsa_enable_private_segment 0
		.amdhsa_system_sgpr_workgroup_id_x 1
		.amdhsa_system_sgpr_workgroup_id_y 1
		.amdhsa_system_sgpr_workgroup_id_z 0
		.amdhsa_system_sgpr_workgroup_info 0
		.amdhsa_system_vgpr_workitem_id 1
		.amdhsa_next_free_vgpr 5
		.amdhsa_next_free_sgpr 9
		.amdhsa_named_barrier_count 0
		.amdhsa_reserve_vcc 0
		.amdhsa_float_round_mode_32 0
		.amdhsa_float_round_mode_16_64 0
		.amdhsa_float_denorm_mode_32 3
		.amdhsa_float_denorm_mode_16_64 3
		.amdhsa_fp16_overflow 0
		.amdhsa_memory_ordered 1
		.amdhsa_forward_progress 1
		.amdhsa_inst_pref_size 2
		.amdhsa_round_robin_scheduling 0
		.amdhsa_exception_fp_ieee_invalid_op 0
		.amdhsa_exception_fp_denorm_src 0
		.amdhsa_exception_fp_ieee_div_zero 0
		.amdhsa_exception_fp_ieee_overflow 0
		.amdhsa_exception_fp_ieee_underflow 0
		.amdhsa_exception_fp_ieee_inexact 0
		.amdhsa_exception_int_div_zero 0
	.end_amdhsa_kernel
	.text
.Lfunc_end3:
	.size	_Z18transposeCoalescedPfPKfii, .Lfunc_end3-_Z18transposeCoalescedPfPKfii
                                        ; -- End function
	.set _Z18transposeCoalescedPfPKfii.num_vgpr, 5
	.set _Z18transposeCoalescedPfPKfii.num_agpr, 0
	.set _Z18transposeCoalescedPfPKfii.numbered_sgpr, 9
	.set _Z18transposeCoalescedPfPKfii.num_named_barrier, 0
	.set _Z18transposeCoalescedPfPKfii.private_seg_size, 0
	.set _Z18transposeCoalescedPfPKfii.uses_vcc, 0
	.set _Z18transposeCoalescedPfPKfii.uses_flat_scratch, 0
	.set _Z18transposeCoalescedPfPKfii.has_dyn_sized_stack, 0
	.set _Z18transposeCoalescedPfPKfii.has_recursion, 0
	.set _Z18transposeCoalescedPfPKfii.has_indirect_call, 0
	.section	.AMDGPU.csdata,"",@progbits
; Kernel info:
; codeLenInByte = 248
; TotalNumSgprs: 9
; NumVgprs: 5
; ScratchSize: 0
; MemoryBound: 0
; FloatMode: 240
; IeeeMode: 1
; LDSByteSize: 1024 bytes/workgroup (compile time only)
; SGPRBlocks: 0
; VGPRBlocks: 0
; NumSGPRsForWavesPerEU: 9
; NumVGPRsForWavesPerEU: 5
; NamedBarCnt: 0
; Occupancy: 16
; WaveLimiterHint : 0
; COMPUTE_PGM_RSRC2:SCRATCH_EN: 0
; COMPUTE_PGM_RSRC2:USER_SGPR: 2
; COMPUTE_PGM_RSRC2:TRAP_HANDLER: 0
; COMPUTE_PGM_RSRC2:TGID_X_EN: 1
; COMPUTE_PGM_RSRC2:TGID_Y_EN: 1
; COMPUTE_PGM_RSRC2:TGID_Z_EN: 0
; COMPUTE_PGM_RSRC2:TIDIG_COMP_CNT: 1
	.text
	.protected	_Z24transposeNoBankConflictsPfPKfii ; -- Begin function _Z24transposeNoBankConflictsPfPKfii
	.globl	_Z24transposeNoBankConflictsPfPKfii
	.p2align	8
	.type	_Z24transposeNoBankConflictsPfPKfii,@function
_Z24transposeNoBankConflictsPfPKfii:    ; @_Z24transposeNoBankConflictsPfPKfii
; %bb.0:
	s_load_b64 s[4:5], s[0:1], 0x10
	s_bfe_u32 s2, ttmp6, 0x4000c
	s_bfe_u32 s6, ttmp6, 0x40010
	s_add_co_i32 s2, s2, 1
	s_and_b32 s3, ttmp6, 15
	s_mul_i32 s2, ttmp9, s2
	s_add_co_i32 s6, s6, 1
	s_add_co_i32 s7, s3, s2
	s_mul_i32 s2, ttmp7, s6
	s_bfe_u32 s3, ttmp6, 0x40004
	s_getreg_b32 s6, hwreg(HW_REG_IB_STS2, 6, 4)
	s_add_co_i32 s8, s3, s2
	s_cmp_eq_u32 s6, 0
	v_and_b32_e32 v1, 0x3ff, v0
	v_bfe_u32 v0, v0, 10, 10
	s_wait_xcnt 0x0
	s_load_b128 s[0:3], s[0:1], 0x0
	s_cselect_b32 s6, ttmp9, s7
	s_cselect_b32 s7, ttmp7, s8
	s_lshl_b32 s6, s6, 4
	s_lshl_b32 s7, s7, 4
	s_delay_alu instid0(SALU_CYCLE_1) | instskip(SKIP_2) | instid1(VALU_DEP_2)
	v_dual_add_nc_u32 v2, s6, v1 :: v_dual_add_nc_u32 v3, s7, v0
	v_lshlrev_b32_e32 v4, 2, v0
	s_wait_kmcnt 0x0
	v_mad_u32 v2, s4, v3, v2
	v_lshlrev_b32_e32 v3, 2, v1
	s_delay_alu instid0(VALU_DEP_3) | instskip(SKIP_1) | instid1(VALU_DEP_3)
	v_mad_u32_u24 v4, 0x44, v1, v4
	v_add_nc_u32_e32 v1, s7, v1
	v_mad_u32_u24 v3, 0x44, v0, v3
	v_add_nc_u32_e32 v0, s6, v0
	global_load_b32 v2, v2, s[2:3] scale_offset
	v_mad_u32 v0, s5, v0, v1
	s_wait_loadcnt 0x0
	ds_store_b32 v3, v2
	s_wait_dscnt 0x0
	s_barrier_signal -1
	s_barrier_wait -1
	ds_load_b32 v2, v4
	s_wait_dscnt 0x0
	global_store_b32 v0, v2, s[0:1] scale_offset
	s_endpgm
	.section	.rodata,"a",@progbits
	.p2align	6, 0x0
	.amdhsa_kernel _Z24transposeNoBankConflictsPfPKfii
		.amdhsa_group_segment_fixed_size 1088
		.amdhsa_private_segment_fixed_size 0
		.amdhsa_kernarg_size 24
		.amdhsa_user_sgpr_count 2
		.amdhsa_user_sgpr_dispatch_ptr 0
		.amdhsa_user_sgpr_queue_ptr 0
		.amdhsa_user_sgpr_kernarg_segment_ptr 1
		.amdhsa_user_sgpr_dispatch_id 0
		.amdhsa_user_sgpr_kernarg_preload_length 0
		.amdhsa_user_sgpr_kernarg_preload_offset 0
		.amdhsa_user_sgpr_private_segment_size 0
		.amdhsa_wavefront_size32 1
		.amdhsa_uses_dynamic_stack 0
		.amdhsa_enable_private_segment 0
		.amdhsa_system_sgpr_workgroup_id_x 1
		.amdhsa_system_sgpr_workgroup_id_y 1
		.amdhsa_system_sgpr_workgroup_id_z 0
		.amdhsa_system_sgpr_workgroup_info 0
		.amdhsa_system_vgpr_workitem_id 1
		.amdhsa_next_free_vgpr 5
		.amdhsa_next_free_sgpr 9
		.amdhsa_named_barrier_count 0
		.amdhsa_reserve_vcc 0
		.amdhsa_float_round_mode_32 0
		.amdhsa_float_round_mode_16_64 0
		.amdhsa_float_denorm_mode_32 3
		.amdhsa_float_denorm_mode_16_64 3
		.amdhsa_fp16_overflow 0
		.amdhsa_memory_ordered 1
		.amdhsa_forward_progress 1
		.amdhsa_inst_pref_size 2
		.amdhsa_round_robin_scheduling 0
		.amdhsa_exception_fp_ieee_invalid_op 0
		.amdhsa_exception_fp_denorm_src 0
		.amdhsa_exception_fp_ieee_div_zero 0
		.amdhsa_exception_fp_ieee_overflow 0
		.amdhsa_exception_fp_ieee_underflow 0
		.amdhsa_exception_fp_ieee_inexact 0
		.amdhsa_exception_int_div_zero 0
	.end_amdhsa_kernel
	.text
.Lfunc_end4:
	.size	_Z24transposeNoBankConflictsPfPKfii, .Lfunc_end4-_Z24transposeNoBankConflictsPfPKfii
                                        ; -- End function
	.set _Z24transposeNoBankConflictsPfPKfii.num_vgpr, 5
	.set _Z24transposeNoBankConflictsPfPKfii.num_agpr, 0
	.set _Z24transposeNoBankConflictsPfPKfii.numbered_sgpr, 9
	.set _Z24transposeNoBankConflictsPfPKfii.num_named_barrier, 0
	.set _Z24transposeNoBankConflictsPfPKfii.private_seg_size, 0
	.set _Z24transposeNoBankConflictsPfPKfii.uses_vcc, 0
	.set _Z24transposeNoBankConflictsPfPKfii.uses_flat_scratch, 0
	.set _Z24transposeNoBankConflictsPfPKfii.has_dyn_sized_stack, 0
	.set _Z24transposeNoBankConflictsPfPKfii.has_recursion, 0
	.set _Z24transposeNoBankConflictsPfPKfii.has_indirect_call, 0
	.section	.AMDGPU.csdata,"",@progbits
; Kernel info:
; codeLenInByte = 256
; TotalNumSgprs: 9
; NumVgprs: 5
; ScratchSize: 0
; MemoryBound: 0
; FloatMode: 240
; IeeeMode: 1
; LDSByteSize: 1088 bytes/workgroup (compile time only)
; SGPRBlocks: 0
; VGPRBlocks: 0
; NumSGPRsForWavesPerEU: 9
; NumVGPRsForWavesPerEU: 5
; NamedBarCnt: 0
; Occupancy: 16
; WaveLimiterHint : 0
; COMPUTE_PGM_RSRC2:SCRATCH_EN: 0
; COMPUTE_PGM_RSRC2:USER_SGPR: 2
; COMPUTE_PGM_RSRC2:TRAP_HANDLER: 0
; COMPUTE_PGM_RSRC2:TGID_X_EN: 1
; COMPUTE_PGM_RSRC2:TGID_Y_EN: 1
; COMPUTE_PGM_RSRC2:TGID_Z_EN: 0
; COMPUTE_PGM_RSRC2:TIDIG_COMP_CNT: 1
	.text
	.protected	_Z17transposeDiagonalPfPKfii ; -- Begin function _Z17transposeDiagonalPfPKfii
	.globl	_Z17transposeDiagonalPfPKfii
	.p2align	8
	.type	_Z17transposeDiagonalPfPKfii,@function
_Z17transposeDiagonalPfPKfii:           ; @_Z17transposeDiagonalPfPKfii
; %bb.0:
	s_clause 0x1
	s_load_b96 s[8:10], s[0:1], 0x10
	s_load_b128 s[4:7], s[0:1], 0x0
	s_bfe_u32 s2, ttmp6, 0x4000c
	s_bfe_u32 s11, ttmp6, 0x40010
	s_add_co_i32 s2, s2, 1
	s_and_b32 s3, ttmp6, 15
	s_mul_i32 s2, ttmp9, s2
	s_add_co_i32 s11, s11, 1
	s_add_co_i32 s3, s3, s2
	s_mul_i32 s2, ttmp7, s11
	s_bfe_u32 s11, ttmp6, 0x40004
	s_getreg_b32 s12, hwreg(HW_REG_IB_STS2, 6, 4)
	s_add_co_i32 s11, s11, s2
	s_cmp_eq_u32 s12, 0
	s_cselect_b32 s2, ttmp9, s3
	s_cselect_b32 s3, ttmp7, s11
	s_mov_b32 s11, 0
	s_wait_kmcnt 0x0
	s_cmp_lg_u32 s8, s9
	s_cbranch_scc0 .LBB5_2
; %bb.1:
	s_add_nc_u64 s[0:1], s[0:1], 24
	s_mul_i32 s13, s10, s3
	s_load_b32 s0, s[0:1], 0x4
	s_add_co_i32 s13, s13, s2
	s_wait_kmcnt 0x0
	s_cvt_f32_u32 s1, s0
	s_sub_co_i32 s12, 0, s0
	s_delay_alu instid0(SALU_CYCLE_2) | instskip(SKIP_1) | instid1(TRANS32_DEP_1)
	v_rcp_iflag_f32_e32 v1, s1
	v_nop
	v_readfirstlane_b32 s1, v1
	s_mul_f32 s1, s1, 0x4f7ffffe
	s_delay_alu instid0(SALU_CYCLE_3) | instskip(NEXT) | instid1(SALU_CYCLE_3)
	s_cvt_u32_f32 s1, s1
	s_mul_i32 s12, s12, s1
	s_delay_alu instid0(SALU_CYCLE_1) | instskip(NEXT) | instid1(SALU_CYCLE_1)
	s_mul_hi_u32 s12, s1, s12
	s_add_co_i32 s1, s1, s12
	s_delay_alu instid0(SALU_CYCLE_1) | instskip(NEXT) | instid1(SALU_CYCLE_1)
	s_mul_hi_u32 s1, s13, s1
	s_mul_i32 s12, s1, s0
	s_add_co_i32 s14, s1, 1
	s_sub_co_i32 s12, s13, s12
	s_delay_alu instid0(SALU_CYCLE_1)
	s_sub_co_i32 s15, s12, s0
	s_cmp_ge_u32 s12, s0
	s_cselect_b32 s1, s14, s1
	s_cselect_b32 s12, s15, s12
	s_add_co_i32 s14, s1, 1
	s_cmp_ge_u32 s12, s0
	s_cselect_b32 s1, s14, s1
	s_delay_alu instid0(SALU_CYCLE_1) | instskip(NEXT) | instid1(SALU_CYCLE_1)
	s_mul_i32 s0, s1, s0
	s_sub_co_i32 s0, s13, s0
	s_delay_alu instid0(SALU_CYCLE_1)
	s_add_co_i32 s1, s1, s0
	s_and_not1_b32 vcc_lo, exec_lo, s11
	s_cbranch_vccz .LBB5_3
	s_branch .LBB5_4
.LBB5_2:
                                        ; implicit-def: $sgpr1
                                        ; implicit-def: $sgpr0
.LBB5_3:
	s_add_co_i32 s1, s2, s3
	s_mov_b32 s0, s2
.LBB5_4:
	s_cvt_f32_u32 s2, s10
	s_sub_co_i32 s3, 0, s10
	s_delay_alu instid0(SALU_CYCLE_2) | instskip(SKIP_1) | instid1(TRANS32_DEP_1)
	v_rcp_iflag_f32_e32 v1, s2
	v_nop
	v_readfirstlane_b32 s2, v1
	v_bfe_u32 v1, v0, 10, 10
	v_and_b32_e32 v0, 0x3ff, v0
	s_mul_f32 s2, s2, 0x4f7ffffe
	s_delay_alu instid0(VALU_DEP_2) | instskip(NEXT) | instid1(SALU_CYCLE_2)
	v_lshlrev_b32_e32 v4, 2, v1
	s_cvt_u32_f32 s2, s2
	s_delay_alu instid0(VALU_DEP_1) | instskip(NEXT) | instid1(SALU_CYCLE_2)
	v_mad_u32_u24 v4, 0x44, v0, v4
	s_mul_i32 s3, s3, s2
	s_delay_alu instid0(SALU_CYCLE_1) | instskip(NEXT) | instid1(SALU_CYCLE_1)
	s_mul_hi_u32 s3, s2, s3
	s_add_co_i32 s2, s2, s3
	s_delay_alu instid0(SALU_CYCLE_1) | instskip(NEXT) | instid1(SALU_CYCLE_1)
	s_mul_hi_u32 s2, s1, s2
	s_mul_i32 s2, s2, s10
	s_delay_alu instid0(SALU_CYCLE_1) | instskip(NEXT) | instid1(SALU_CYCLE_1)
	s_sub_co_i32 s1, s1, s2
	s_sub_co_i32 s2, s1, s10
	s_cmp_ge_u32 s1, s10
	s_cselect_b32 s1, s2, s1
	s_delay_alu instid0(SALU_CYCLE_1) | instskip(SKIP_4) | instid1(SALU_CYCLE_1)
	s_sub_co_i32 s2, s1, s10
	s_cmp_ge_u32 s1, s10
	s_cselect_b32 s1, s2, s1
	s_lshl_b32 s0, s0, 4
	s_lshl_b32 s1, s1, 4
	v_dual_add_nc_u32 v2, s0, v1 :: v_dual_add_nc_u32 v3, s1, v0
	s_delay_alu instid0(VALU_DEP_1) | instskip(SKIP_1) | instid1(VALU_DEP_1)
	v_mad_u32 v2, v2, s8, v3
	v_dual_lshlrev_b32 v3, 2, v0 :: v_dual_add_nc_u32 v0, s0, v0
	v_mad_u32_u24 v3, 0x44, v1, v3
	v_add_nc_u32_e32 v1, s1, v1
	global_load_b32 v2, v2, s[6:7] scale_offset
	v_mad_u32 v0, v1, s9, v0
	s_wait_loadcnt 0x0
	ds_store_b32 v3, v2
	s_wait_dscnt 0x0
	s_barrier_signal -1
	s_barrier_wait -1
	ds_load_b32 v2, v4
	s_wait_dscnt 0x0
	global_store_b32 v0, v2, s[4:5] scale_offset
	s_endpgm
	.section	.rodata,"a",@progbits
	.p2align	6, 0x0
	.amdhsa_kernel _Z17transposeDiagonalPfPKfii
		.amdhsa_group_segment_fixed_size 1088
		.amdhsa_private_segment_fixed_size 0
		.amdhsa_kernarg_size 280
		.amdhsa_user_sgpr_count 2
		.amdhsa_user_sgpr_dispatch_ptr 0
		.amdhsa_user_sgpr_queue_ptr 0
		.amdhsa_user_sgpr_kernarg_segment_ptr 1
		.amdhsa_user_sgpr_dispatch_id 0
		.amdhsa_user_sgpr_kernarg_preload_length 0
		.amdhsa_user_sgpr_kernarg_preload_offset 0
		.amdhsa_user_sgpr_private_segment_size 0
		.amdhsa_wavefront_size32 1
		.amdhsa_uses_dynamic_stack 0
		.amdhsa_enable_private_segment 0
		.amdhsa_system_sgpr_workgroup_id_x 1
		.amdhsa_system_sgpr_workgroup_id_y 1
		.amdhsa_system_sgpr_workgroup_id_z 0
		.amdhsa_system_sgpr_workgroup_info 0
		.amdhsa_system_vgpr_workitem_id 1
		.amdhsa_next_free_vgpr 5
		.amdhsa_next_free_sgpr 16
		.amdhsa_named_barrier_count 0
		.amdhsa_reserve_vcc 1
		.amdhsa_float_round_mode_32 0
		.amdhsa_float_round_mode_16_64 0
		.amdhsa_float_denorm_mode_32 3
		.amdhsa_float_denorm_mode_16_64 3
		.amdhsa_fp16_overflow 0
		.amdhsa_memory_ordered 1
		.amdhsa_forward_progress 1
		.amdhsa_inst_pref_size 5
		.amdhsa_round_robin_scheduling 0
		.amdhsa_exception_fp_ieee_invalid_op 0
		.amdhsa_exception_fp_denorm_src 0
		.amdhsa_exception_fp_ieee_div_zero 0
		.amdhsa_exception_fp_ieee_overflow 0
		.amdhsa_exception_fp_ieee_underflow 0
		.amdhsa_exception_fp_ieee_inexact 0
		.amdhsa_exception_int_div_zero 0
	.end_amdhsa_kernel
	.text
.Lfunc_end5:
	.size	_Z17transposeDiagonalPfPKfii, .Lfunc_end5-_Z17transposeDiagonalPfPKfii
                                        ; -- End function
	.set _Z17transposeDiagonalPfPKfii.num_vgpr, 5
	.set _Z17transposeDiagonalPfPKfii.num_agpr, 0
	.set _Z17transposeDiagonalPfPKfii.numbered_sgpr, 16
	.set _Z17transposeDiagonalPfPKfii.num_named_barrier, 0
	.set _Z17transposeDiagonalPfPKfii.private_seg_size, 0
	.set _Z17transposeDiagonalPfPKfii.uses_vcc, 1
	.set _Z17transposeDiagonalPfPKfii.uses_flat_scratch, 0
	.set _Z17transposeDiagonalPfPKfii.has_dyn_sized_stack, 0
	.set _Z17transposeDiagonalPfPKfii.has_recursion, 0
	.set _Z17transposeDiagonalPfPKfii.has_indirect_call, 0
	.section	.AMDGPU.csdata,"",@progbits
; Kernel info:
; codeLenInByte = 548
; TotalNumSgprs: 18
; NumVgprs: 5
; ScratchSize: 0
; MemoryBound: 0
; FloatMode: 240
; IeeeMode: 1
; LDSByteSize: 1088 bytes/workgroup (compile time only)
; SGPRBlocks: 0
; VGPRBlocks: 0
; NumSGPRsForWavesPerEU: 18
; NumVGPRsForWavesPerEU: 5
; NamedBarCnt: 0
; Occupancy: 16
; WaveLimiterHint : 0
; COMPUTE_PGM_RSRC2:SCRATCH_EN: 0
; COMPUTE_PGM_RSRC2:USER_SGPR: 2
; COMPUTE_PGM_RSRC2:TRAP_HANDLER: 0
; COMPUTE_PGM_RSRC2:TGID_X_EN: 1
; COMPUTE_PGM_RSRC2:TGID_Y_EN: 1
; COMPUTE_PGM_RSRC2:TGID_Z_EN: 0
; COMPUTE_PGM_RSRC2:TIDIG_COMP_CNT: 1
	.text
	.protected	_Z20transposeFineGrainedPfPKfii ; -- Begin function _Z20transposeFineGrainedPfPKfii
	.globl	_Z20transposeFineGrainedPfPKfii
	.p2align	8
	.type	_Z20transposeFineGrainedPfPKfii,@function
_Z20transposeFineGrainedPfPKfii:        ; @_Z20transposeFineGrainedPfPKfii
; %bb.0:
	s_load_b32 s4, s[0:1], 0x10
	s_bfe_u32 s2, ttmp6, 0x4000c
	s_bfe_u32 s5, ttmp6, 0x40010
	s_add_co_i32 s2, s2, 1
	s_and_b32 s3, ttmp6, 15
	s_mul_i32 s2, ttmp9, s2
	s_add_co_i32 s5, s5, 1
	s_add_co_i32 s6, s3, s2
	s_mul_i32 s2, ttmp7, s5
	s_bfe_u32 s3, ttmp6, 0x40004
	s_getreg_b32 s5, hwreg(HW_REG_IB_STS2, 6, 4)
	s_add_co_i32 s7, s3, s2
	v_and_b32_e32 v1, 0x3ff, v0
	v_bfe_u32 v0, v0, 10, 10
	s_cmp_eq_u32 s5, 0
	s_wait_xcnt 0x0
	s_load_b128 s[0:3], s[0:1], 0x0
	s_cselect_b32 s5, ttmp9, s6
	s_cselect_b32 s6, ttmp7, s7
	v_lshl_add_u32 v2, s5, 4, v1
	v_lshl_add_u32 v3, s6, 4, v0
	v_dual_lshlrev_b32 v4, 2, v1 :: v_dual_lshlrev_b32 v5, 2, v0
	s_wait_kmcnt 0x0
	s_delay_alu instid0(VALU_DEP_2) | instskip(NEXT) | instid1(VALU_DEP_2)
	v_mad_u32 v2, s4, v3, v2
	v_mad_u32_u24 v0, 0x44, v0, v4
	s_delay_alu instid0(VALU_DEP_3)
	v_mad_u32_u24 v1, 0x44, v1, v5
	global_load_b32 v3, v2, s[2:3] scale_offset
	s_wait_loadcnt 0x0
	ds_store_b32 v0, v3
	s_wait_dscnt 0x0
	s_barrier_signal -1
	s_barrier_wait -1
	ds_load_b32 v0, v1
	s_wait_dscnt 0x0
	global_store_b32 v2, v0, s[0:1] scale_offset
	s_endpgm
	.section	.rodata,"a",@progbits
	.p2align	6, 0x0
	.amdhsa_kernel _Z20transposeFineGrainedPfPKfii
		.amdhsa_group_segment_fixed_size 1088
		.amdhsa_private_segment_fixed_size 0
		.amdhsa_kernarg_size 24
		.amdhsa_user_sgpr_count 2
		.amdhsa_user_sgpr_dispatch_ptr 0
		.amdhsa_user_sgpr_queue_ptr 0
		.amdhsa_user_sgpr_kernarg_segment_ptr 1
		.amdhsa_user_sgpr_dispatch_id 0
		.amdhsa_user_sgpr_kernarg_preload_length 0
		.amdhsa_user_sgpr_kernarg_preload_offset 0
		.amdhsa_user_sgpr_private_segment_size 0
		.amdhsa_wavefront_size32 1
		.amdhsa_uses_dynamic_stack 0
		.amdhsa_enable_private_segment 0
		.amdhsa_system_sgpr_workgroup_id_x 1
		.amdhsa_system_sgpr_workgroup_id_y 1
		.amdhsa_system_sgpr_workgroup_id_z 0
		.amdhsa_system_sgpr_workgroup_info 0
		.amdhsa_system_vgpr_workitem_id 1
		.amdhsa_next_free_vgpr 6
		.amdhsa_next_free_sgpr 8
		.amdhsa_named_barrier_count 0
		.amdhsa_reserve_vcc 0
		.amdhsa_float_round_mode_32 0
		.amdhsa_float_round_mode_16_64 0
		.amdhsa_float_denorm_mode_32 3
		.amdhsa_float_denorm_mode_16_64 3
		.amdhsa_fp16_overflow 0
		.amdhsa_memory_ordered 1
		.amdhsa_forward_progress 1
		.amdhsa_inst_pref_size 2
		.amdhsa_round_robin_scheduling 0
		.amdhsa_exception_fp_ieee_invalid_op 0
		.amdhsa_exception_fp_denorm_src 0
		.amdhsa_exception_fp_ieee_div_zero 0
		.amdhsa_exception_fp_ieee_overflow 0
		.amdhsa_exception_fp_ieee_underflow 0
		.amdhsa_exception_fp_ieee_inexact 0
		.amdhsa_exception_int_div_zero 0
	.end_amdhsa_kernel
	.text
.Lfunc_end6:
	.size	_Z20transposeFineGrainedPfPKfii, .Lfunc_end6-_Z20transposeFineGrainedPfPKfii
                                        ; -- End function
	.set _Z20transposeFineGrainedPfPKfii.num_vgpr, 6
	.set _Z20transposeFineGrainedPfPKfii.num_agpr, 0
	.set _Z20transposeFineGrainedPfPKfii.numbered_sgpr, 8
	.set _Z20transposeFineGrainedPfPKfii.num_named_barrier, 0
	.set _Z20transposeFineGrainedPfPKfii.private_seg_size, 0
	.set _Z20transposeFineGrainedPfPKfii.uses_vcc, 0
	.set _Z20transposeFineGrainedPfPKfii.uses_flat_scratch, 0
	.set _Z20transposeFineGrainedPfPKfii.has_dyn_sized_stack, 0
	.set _Z20transposeFineGrainedPfPKfii.has_recursion, 0
	.set _Z20transposeFineGrainedPfPKfii.has_indirect_call, 0
	.section	.AMDGPU.csdata,"",@progbits
; Kernel info:
; codeLenInByte = 240
; TotalNumSgprs: 8
; NumVgprs: 6
; ScratchSize: 0
; MemoryBound: 0
; FloatMode: 240
; IeeeMode: 1
; LDSByteSize: 1088 bytes/workgroup (compile time only)
; SGPRBlocks: 0
; VGPRBlocks: 0
; NumSGPRsForWavesPerEU: 8
; NumVGPRsForWavesPerEU: 6
; NamedBarCnt: 0
; Occupancy: 16
; WaveLimiterHint : 0
; COMPUTE_PGM_RSRC2:SCRATCH_EN: 0
; COMPUTE_PGM_RSRC2:USER_SGPR: 2
; COMPUTE_PGM_RSRC2:TRAP_HANDLER: 0
; COMPUTE_PGM_RSRC2:TGID_X_EN: 1
; COMPUTE_PGM_RSRC2:TGID_Y_EN: 1
; COMPUTE_PGM_RSRC2:TGID_Z_EN: 0
; COMPUTE_PGM_RSRC2:TIDIG_COMP_CNT: 1
	.text
	.protected	_Z22transposeCoarseGrainedPfPKfii ; -- Begin function _Z22transposeCoarseGrainedPfPKfii
	.globl	_Z22transposeCoarseGrainedPfPKfii
	.p2align	8
	.type	_Z22transposeCoarseGrainedPfPKfii,@function
_Z22transposeCoarseGrainedPfPKfii:      ; @_Z22transposeCoarseGrainedPfPKfii
; %bb.0:
	s_load_b64 s[4:5], s[0:1], 0x10
	s_bfe_u32 s2, ttmp6, 0x4000c
	s_bfe_u32 s6, ttmp6, 0x40010
	s_add_co_i32 s2, s2, 1
	s_and_b32 s3, ttmp6, 15
	s_mul_i32 s2, ttmp9, s2
	s_add_co_i32 s6, s6, 1
	s_add_co_i32 s7, s3, s2
	s_mul_i32 s2, ttmp7, s6
	s_bfe_u32 s3, ttmp6, 0x40004
	s_getreg_b32 s6, hwreg(HW_REG_IB_STS2, 6, 4)
	s_add_co_i32 s8, s3, s2
	s_cmp_eq_u32 s6, 0
	v_and_b32_e32 v1, 0x3ff, v0
	v_bfe_u32 v0, v0, 10, 10
	s_wait_xcnt 0x0
	s_load_b128 s[0:3], s[0:1], 0x0
	s_cselect_b32 s6, ttmp9, s7
	s_cselect_b32 s7, ttmp7, s8
	s_lshl_b32 s6, s6, 4
	s_lshl_b32 s7, s7, 4
	s_delay_alu instid0(SALU_CYCLE_1) | instskip(SKIP_1) | instid1(VALU_DEP_1)
	v_dual_add_nc_u32 v2, s6, v1 :: v_dual_add_nc_u32 v3, s7, v0
	s_wait_kmcnt 0x0
	v_mad_u32 v2, s4, v3, v2
	v_dual_lshlrev_b32 v3, 2, v1 :: v_dual_add_nc_u32 v1, s7, v1
	s_delay_alu instid0(VALU_DEP_1)
	v_mad_u32_u24 v3, 0x44, v0, v3
	v_add_nc_u32_e32 v0, s6, v0
	global_load_b32 v2, v2, s[2:3] scale_offset
	v_mad_u32 v0, s5, v0, v1
	s_wait_loadcnt 0x0
	ds_store_b32 v3, v2
	s_wait_dscnt 0x0
	s_barrier_signal -1
	s_barrier_wait -1
	ds_load_b32 v2, v3
	s_wait_dscnt 0x0
	global_store_b32 v0, v2, s[0:1] scale_offset
	s_endpgm
	.section	.rodata,"a",@progbits
	.p2align	6, 0x0
	.amdhsa_kernel _Z22transposeCoarseGrainedPfPKfii
		.amdhsa_group_segment_fixed_size 1088
		.amdhsa_private_segment_fixed_size 0
		.amdhsa_kernarg_size 24
		.amdhsa_user_sgpr_count 2
		.amdhsa_user_sgpr_dispatch_ptr 0
		.amdhsa_user_sgpr_queue_ptr 0
		.amdhsa_user_sgpr_kernarg_segment_ptr 1
		.amdhsa_user_sgpr_dispatch_id 0
		.amdhsa_user_sgpr_kernarg_preload_length 0
		.amdhsa_user_sgpr_kernarg_preload_offset 0
		.amdhsa_user_sgpr_private_segment_size 0
		.amdhsa_wavefront_size32 1
		.amdhsa_uses_dynamic_stack 0
		.amdhsa_enable_private_segment 0
		.amdhsa_system_sgpr_workgroup_id_x 1
		.amdhsa_system_sgpr_workgroup_id_y 1
		.amdhsa_system_sgpr_workgroup_id_z 0
		.amdhsa_system_sgpr_workgroup_info 0
		.amdhsa_system_vgpr_workitem_id 1
		.amdhsa_next_free_vgpr 4
		.amdhsa_next_free_sgpr 9
		.amdhsa_named_barrier_count 0
		.amdhsa_reserve_vcc 0
		.amdhsa_float_round_mode_32 0
		.amdhsa_float_round_mode_16_64 0
		.amdhsa_float_denorm_mode_32 3
		.amdhsa_float_denorm_mode_16_64 3
		.amdhsa_fp16_overflow 0
		.amdhsa_memory_ordered 1
		.amdhsa_forward_progress 1
		.amdhsa_inst_pref_size 2
		.amdhsa_round_robin_scheduling 0
		.amdhsa_exception_fp_ieee_invalid_op 0
		.amdhsa_exception_fp_denorm_src 0
		.amdhsa_exception_fp_ieee_div_zero 0
		.amdhsa_exception_fp_ieee_overflow 0
		.amdhsa_exception_fp_ieee_underflow 0
		.amdhsa_exception_fp_ieee_inexact 0
		.amdhsa_exception_int_div_zero 0
	.end_amdhsa_kernel
	.text
.Lfunc_end7:
	.size	_Z22transposeCoarseGrainedPfPKfii, .Lfunc_end7-_Z22transposeCoarseGrainedPfPKfii
                                        ; -- End function
	.set _Z22transposeCoarseGrainedPfPKfii.num_vgpr, 4
	.set _Z22transposeCoarseGrainedPfPKfii.num_agpr, 0
	.set _Z22transposeCoarseGrainedPfPKfii.numbered_sgpr, 9
	.set _Z22transposeCoarseGrainedPfPKfii.num_named_barrier, 0
	.set _Z22transposeCoarseGrainedPfPKfii.private_seg_size, 0
	.set _Z22transposeCoarseGrainedPfPKfii.uses_vcc, 0
	.set _Z22transposeCoarseGrainedPfPKfii.uses_flat_scratch, 0
	.set _Z22transposeCoarseGrainedPfPKfii.has_dyn_sized_stack, 0
	.set _Z22transposeCoarseGrainedPfPKfii.has_recursion, 0
	.set _Z22transposeCoarseGrainedPfPKfii.has_indirect_call, 0
	.section	.AMDGPU.csdata,"",@progbits
; Kernel info:
; codeLenInByte = 244
; TotalNumSgprs: 9
; NumVgprs: 4
; ScratchSize: 0
; MemoryBound: 0
; FloatMode: 240
; IeeeMode: 1
; LDSByteSize: 1088 bytes/workgroup (compile time only)
; SGPRBlocks: 0
; VGPRBlocks: 0
; NumSGPRsForWavesPerEU: 9
; NumVGPRsForWavesPerEU: 4
; NamedBarCnt: 0
; Occupancy: 16
; WaveLimiterHint : 0
; COMPUTE_PGM_RSRC2:SCRATCH_EN: 0
; COMPUTE_PGM_RSRC2:USER_SGPR: 2
; COMPUTE_PGM_RSRC2:TRAP_HANDLER: 0
; COMPUTE_PGM_RSRC2:TGID_X_EN: 1
; COMPUTE_PGM_RSRC2:TGID_Y_EN: 1
; COMPUTE_PGM_RSRC2:TGID_Z_EN: 0
; COMPUTE_PGM_RSRC2:TIDIG_COMP_CNT: 1
	.text
	.p2alignl 7, 3214868480
	.fill 96, 4, 3214868480
	.section	.AMDGPU.gpr_maximums,"",@progbits
	.set amdgpu.max_num_vgpr, 0
	.set amdgpu.max_num_agpr, 0
	.set amdgpu.max_num_sgpr, 0
	.text
	.type	__hip_cuid_ba9b19c76c875d2b,@object ; @__hip_cuid_ba9b19c76c875d2b
	.section	.bss,"aw",@nobits
	.globl	__hip_cuid_ba9b19c76c875d2b
__hip_cuid_ba9b19c76c875d2b:
	.byte	0                               ; 0x0
	.size	__hip_cuid_ba9b19c76c875d2b, 1

	.ident	"AMD clang version 22.0.0git (https://github.com/RadeonOpenCompute/llvm-project roc-7.2.4 26084 f58b06dce1f9c15707c5f808fd002e18c2accf7e)"
	.section	".note.GNU-stack","",@progbits
	.addrsig
	.addrsig_sym __hip_cuid_ba9b19c76c875d2b
	.amdgpu_metadata
---
amdhsa.kernels:
  - .args:
      - .actual_access:  write_only
        .address_space:  global
        .offset:         0
        .size:           8
        .value_kind:     global_buffer
      - .actual_access:  read_only
        .address_space:  global
        .offset:         8
        .size:           8
        .value_kind:     global_buffer
      - .offset:         16
        .size:           4
        .value_kind:     by_value
      - .offset:         20
        .size:           4
        .value_kind:     by_value
    .group_segment_fixed_size: 0
    .kernarg_segment_align: 8
    .kernarg_segment_size: 24
    .language:       OpenCL C
    .language_version:
      - 2
      - 0
    .max_flat_workgroup_size: 1024
    .name:           _Z4copyPfPKfii
    .private_segment_fixed_size: 0
    .sgpr_count:     8
    .sgpr_spill_count: 0
    .symbol:         _Z4copyPfPKfii.kd
    .uniform_work_group_size: 1
    .uses_dynamic_stack: false
    .vgpr_count:     2
    .vgpr_spill_count: 0
    .wavefront_size: 32
  - .args:
      - .actual_access:  write_only
        .address_space:  global
        .offset:         0
        .size:           8
        .value_kind:     global_buffer
      - .actual_access:  read_only
        .address_space:  global
        .offset:         8
        .size:           8
        .value_kind:     global_buffer
      - .offset:         16
        .size:           4
        .value_kind:     by_value
      - .offset:         20
        .size:           4
        .value_kind:     by_value
    .group_segment_fixed_size: 1024
    .kernarg_segment_align: 8
    .kernarg_segment_size: 24
    .language:       OpenCL C
    .language_version:
      - 2
      - 0
    .max_flat_workgroup_size: 1024
    .name:           _Z13copySharedMemPfPKfii
    .private_segment_fixed_size: 0
    .sgpr_count:     10
    .sgpr_spill_count: 0
    .symbol:         _Z13copySharedMemPfPKfii.kd
    .uniform_work_group_size: 1
    .uses_dynamic_stack: false
    .vgpr_count:     7
    .vgpr_spill_count: 0
    .wavefront_size: 32
  - .args:
      - .actual_access:  write_only
        .address_space:  global
        .offset:         0
        .size:           8
        .value_kind:     global_buffer
      - .actual_access:  read_only
        .address_space:  global
        .offset:         8
        .size:           8
        .value_kind:     global_buffer
      - .offset:         16
        .size:           4
        .value_kind:     by_value
      - .offset:         20
        .size:           4
        .value_kind:     by_value
    .group_segment_fixed_size: 0
    .kernarg_segment_align: 8
    .kernarg_segment_size: 24
    .language:       OpenCL C
    .language_version:
      - 2
      - 0
    .max_flat_workgroup_size: 1024
    .name:           _Z14transposeNaivePfPKfii
    .private_segment_fixed_size: 0
    .sgpr_count:     9
    .sgpr_spill_count: 0
    .symbol:         _Z14transposeNaivePfPKfii.kd
    .uniform_work_group_size: 1
    .uses_dynamic_stack: false
    .vgpr_count:     3
    .vgpr_spill_count: 0
    .wavefront_size: 32
  - .args:
      - .actual_access:  write_only
        .address_space:  global
        .offset:         0
        .size:           8
        .value_kind:     global_buffer
      - .actual_access:  read_only
        .address_space:  global
        .offset:         8
        .size:           8
        .value_kind:     global_buffer
      - .offset:         16
        .size:           4
        .value_kind:     by_value
      - .offset:         20
        .size:           4
        .value_kind:     by_value
    .group_segment_fixed_size: 1024
    .kernarg_segment_align: 8
    .kernarg_segment_size: 24
    .language:       OpenCL C
    .language_version:
      - 2
      - 0
    .max_flat_workgroup_size: 1024
    .name:           _Z18transposeCoalescedPfPKfii
    .private_segment_fixed_size: 0
    .sgpr_count:     9
    .sgpr_spill_count: 0
    .symbol:         _Z18transposeCoalescedPfPKfii.kd
    .uniform_work_group_size: 1
    .uses_dynamic_stack: false
    .vgpr_count:     5
    .vgpr_spill_count: 0
    .wavefront_size: 32
  - .args:
      - .actual_access:  write_only
        .address_space:  global
        .offset:         0
        .size:           8
        .value_kind:     global_buffer
      - .actual_access:  read_only
        .address_space:  global
        .offset:         8
        .size:           8
        .value_kind:     global_buffer
      - .offset:         16
        .size:           4
        .value_kind:     by_value
      - .offset:         20
        .size:           4
        .value_kind:     by_value
    .group_segment_fixed_size: 1088
    .kernarg_segment_align: 8
    .kernarg_segment_size: 24
    .language:       OpenCL C
    .language_version:
      - 2
      - 0
    .max_flat_workgroup_size: 1024
    .name:           _Z24transposeNoBankConflictsPfPKfii
    .private_segment_fixed_size: 0
    .sgpr_count:     9
    .sgpr_spill_count: 0
    .symbol:         _Z24transposeNoBankConflictsPfPKfii.kd
    .uniform_work_group_size: 1
    .uses_dynamic_stack: false
    .vgpr_count:     5
    .vgpr_spill_count: 0
    .wavefront_size: 32
  - .args:
      - .actual_access:  write_only
        .address_space:  global
        .offset:         0
        .size:           8
        .value_kind:     global_buffer
      - .actual_access:  read_only
        .address_space:  global
        .offset:         8
        .size:           8
        .value_kind:     global_buffer
      - .offset:         16
        .size:           4
        .value_kind:     by_value
      - .offset:         20
        .size:           4
        .value_kind:     by_value
      - .offset:         24
        .size:           4
        .value_kind:     hidden_block_count_x
      - .offset:         28
        .size:           4
        .value_kind:     hidden_block_count_y
      - .offset:         32
        .size:           4
        .value_kind:     hidden_block_count_z
      - .offset:         36
        .size:           2
        .value_kind:     hidden_group_size_x
      - .offset:         38
        .size:           2
        .value_kind:     hidden_group_size_y
      - .offset:         40
        .size:           2
        .value_kind:     hidden_group_size_z
      - .offset:         42
        .size:           2
        .value_kind:     hidden_remainder_x
      - .offset:         44
        .size:           2
        .value_kind:     hidden_remainder_y
      - .offset:         46
        .size:           2
        .value_kind:     hidden_remainder_z
      - .offset:         64
        .size:           8
        .value_kind:     hidden_global_offset_x
      - .offset:         72
        .size:           8
        .value_kind:     hidden_global_offset_y
      - .offset:         80
        .size:           8
        .value_kind:     hidden_global_offset_z
      - .offset:         88
        .size:           2
        .value_kind:     hidden_grid_dims
    .group_segment_fixed_size: 1088
    .kernarg_segment_align: 8
    .kernarg_segment_size: 280
    .language:       OpenCL C
    .language_version:
      - 2
      - 0
    .max_flat_workgroup_size: 1024
    .name:           _Z17transposeDiagonalPfPKfii
    .private_segment_fixed_size: 0
    .sgpr_count:     18
    .sgpr_spill_count: 0
    .symbol:         _Z17transposeDiagonalPfPKfii.kd
    .uniform_work_group_size: 1
    .uses_dynamic_stack: false
    .vgpr_count:     5
    .vgpr_spill_count: 0
    .wavefront_size: 32
  - .args:
      - .actual_access:  write_only
        .address_space:  global
        .offset:         0
        .size:           8
        .value_kind:     global_buffer
      - .actual_access:  read_only
        .address_space:  global
        .offset:         8
        .size:           8
        .value_kind:     global_buffer
      - .offset:         16
        .size:           4
        .value_kind:     by_value
      - .offset:         20
        .size:           4
        .value_kind:     by_value
    .group_segment_fixed_size: 1088
    .kernarg_segment_align: 8
    .kernarg_segment_size: 24
    .language:       OpenCL C
    .language_version:
      - 2
      - 0
    .max_flat_workgroup_size: 1024
    .name:           _Z20transposeFineGrainedPfPKfii
    .private_segment_fixed_size: 0
    .sgpr_count:     8
    .sgpr_spill_count: 0
    .symbol:         _Z20transposeFineGrainedPfPKfii.kd
    .uniform_work_group_size: 1
    .uses_dynamic_stack: false
    .vgpr_count:     6
    .vgpr_spill_count: 0
    .wavefront_size: 32
  - .args:
      - .actual_access:  write_only
        .address_space:  global
        .offset:         0
        .size:           8
        .value_kind:     global_buffer
      - .actual_access:  read_only
        .address_space:  global
        .offset:         8
        .size:           8
        .value_kind:     global_buffer
      - .offset:         16
        .size:           4
        .value_kind:     by_value
      - .offset:         20
        .size:           4
        .value_kind:     by_value
    .group_segment_fixed_size: 1088
    .kernarg_segment_align: 8
    .kernarg_segment_size: 24
    .language:       OpenCL C
    .language_version:
      - 2
      - 0
    .max_flat_workgroup_size: 1024
    .name:           _Z22transposeCoarseGrainedPfPKfii
    .private_segment_fixed_size: 0
    .sgpr_count:     9
    .sgpr_spill_count: 0
    .symbol:         _Z22transposeCoarseGrainedPfPKfii.kd
    .uniform_work_group_size: 1
    .uses_dynamic_stack: false
    .vgpr_count:     4
    .vgpr_spill_count: 0
    .wavefront_size: 32
amdhsa.target:   amdgcn-amd-amdhsa--gfx1250
amdhsa.version:
  - 1
  - 2
...

	.end_amdgpu_metadata
